;; amdgpu-corpus repo=llvm/llvm-project kind=harvested arch=n/a opt=n/a
// NOTE: Assertions have been autogenerated by utils/update_mc_test_checks.py UTC_ARGS: --unique --sort --version 6
// RUN: not llvm-mc -triple=amdgcn -mcpu=tonga %s -filetype=null 2>&1 | FileCheck --implicit-check-not=error: %s

//---------------------------------------------------------------------------//
// VOP3 Modifiers
//---------------------------------------------------------------------------//

v_ceil_f16 v0, abs(neg(1))
// CHECK: :[[@LINE-1]]:20: error: failed parsing operand.

v_ceil_f32 v0, --1
// CHECK: :[[@LINE-1]]:16: error: invalid syntax, expected 'neg' modifier

// 'neg(1)' cannot be encoded as 32-bit literal while preserving e64 semantics
v_ceil_f64_e32 v[0:1], neg(1)
// CHECK: :[[@LINE-1]]:28: error: invalid operand for instruction

v_cvt_f16_u16_e64 v5, s1 noXXXclamp
// CHECK: :[[@LINE-1]]:26: error: invalid operand for instruction
